;; amdgpu-corpus repo=ROCm/rocFFT kind=compiled arch=gfx1030 opt=O3
	.text
	.amdgcn_target "amdgcn-amd-amdhsa--gfx1030"
	.amdhsa_code_object_version 6
	.protected	fft_rtc_back_len308_factors_11_7_4_wgs_44_tpt_44_dp_op_CI_CI_unitstride_sbrr_C2R_dirReg ; -- Begin function fft_rtc_back_len308_factors_11_7_4_wgs_44_tpt_44_dp_op_CI_CI_unitstride_sbrr_C2R_dirReg
	.globl	fft_rtc_back_len308_factors_11_7_4_wgs_44_tpt_44_dp_op_CI_CI_unitstride_sbrr_C2R_dirReg
	.p2align	8
	.type	fft_rtc_back_len308_factors_11_7_4_wgs_44_tpt_44_dp_op_CI_CI_unitstride_sbrr_C2R_dirReg,@function
fft_rtc_back_len308_factors_11_7_4_wgs_44_tpt_44_dp_op_CI_CI_unitstride_sbrr_C2R_dirReg: ; @fft_rtc_back_len308_factors_11_7_4_wgs_44_tpt_44_dp_op_CI_CI_unitstride_sbrr_C2R_dirReg
; %bb.0:
	s_clause 0x2
	s_load_dwordx4 s[12:15], s[4:5], 0x0
	s_load_dwordx4 s[8:11], s[4:5], 0x58
	;; [unrolled: 1-line block ×3, first 2 shown]
	v_mul_u32_u24_e32 v1, 0x5d2, v0
	v_mov_b32_e32 v3, 0
	v_add_nc_u32_sdwa v5, s6, v1 dst_sel:DWORD dst_unused:UNUSED_PAD src0_sel:DWORD src1_sel:WORD_1
	v_mov_b32_e32 v1, 0
	v_mov_b32_e32 v6, v3
	v_mov_b32_e32 v2, 0
	s_waitcnt lgkmcnt(0)
	v_cmp_lt_u64_e64 s0, s[14:15], 2
	s_and_b32 vcc_lo, exec_lo, s0
	s_cbranch_vccnz .LBB0_8
; %bb.1:
	s_load_dwordx2 s[0:1], s[4:5], 0x10
	v_mov_b32_e32 v1, 0
	v_mov_b32_e32 v2, 0
	s_add_u32 s2, s18, 8
	s_addc_u32 s3, s19, 0
	s_add_u32 s6, s16, 8
	s_addc_u32 s7, s17, 0
	v_mov_b32_e32 v49, v2
	v_mov_b32_e32 v48, v1
	s_mov_b64 s[22:23], 1
	s_waitcnt lgkmcnt(0)
	s_add_u32 s20, s0, 8
	s_addc_u32 s21, s1, 0
.LBB0_2:                                ; =>This Inner Loop Header: Depth=1
	s_load_dwordx2 s[24:25], s[20:21], 0x0
                                        ; implicit-def: $vgpr50_vgpr51
	s_mov_b32 s0, exec_lo
	s_waitcnt lgkmcnt(0)
	v_or_b32_e32 v4, s25, v6
	v_cmpx_ne_u64_e32 0, v[3:4]
	s_xor_b32 s1, exec_lo, s0
	s_cbranch_execz .LBB0_4
; %bb.3:                                ;   in Loop: Header=BB0_2 Depth=1
	v_cvt_f32_u32_e32 v4, s24
	v_cvt_f32_u32_e32 v7, s25
	s_sub_u32 s0, 0, s24
	s_subb_u32 s26, 0, s25
	v_fmac_f32_e32 v4, 0x4f800000, v7
	v_rcp_f32_e32 v4, v4
	v_mul_f32_e32 v4, 0x5f7ffffc, v4
	v_mul_f32_e32 v7, 0x2f800000, v4
	v_trunc_f32_e32 v7, v7
	v_fmac_f32_e32 v4, 0xcf800000, v7
	v_cvt_u32_f32_e32 v7, v7
	v_cvt_u32_f32_e32 v4, v4
	v_mul_lo_u32 v8, s0, v7
	v_mul_hi_u32 v9, s0, v4
	v_mul_lo_u32 v10, s26, v4
	v_add_nc_u32_e32 v8, v9, v8
	v_mul_lo_u32 v9, s0, v4
	v_add_nc_u32_e32 v8, v8, v10
	v_mul_hi_u32 v10, v4, v9
	v_mul_lo_u32 v11, v4, v8
	v_mul_hi_u32 v12, v4, v8
	v_mul_hi_u32 v13, v7, v9
	v_mul_lo_u32 v9, v7, v9
	v_mul_hi_u32 v14, v7, v8
	v_mul_lo_u32 v8, v7, v8
	v_add_co_u32 v10, vcc_lo, v10, v11
	v_add_co_ci_u32_e32 v11, vcc_lo, 0, v12, vcc_lo
	v_add_co_u32 v9, vcc_lo, v10, v9
	v_add_co_ci_u32_e32 v9, vcc_lo, v11, v13, vcc_lo
	v_add_co_ci_u32_e32 v10, vcc_lo, 0, v14, vcc_lo
	v_add_co_u32 v8, vcc_lo, v9, v8
	v_add_co_ci_u32_e32 v9, vcc_lo, 0, v10, vcc_lo
	v_add_co_u32 v4, vcc_lo, v4, v8
	v_add_co_ci_u32_e32 v7, vcc_lo, v7, v9, vcc_lo
	v_mul_hi_u32 v8, s0, v4
	v_mul_lo_u32 v10, s26, v4
	v_mul_lo_u32 v9, s0, v7
	v_add_nc_u32_e32 v8, v8, v9
	v_mul_lo_u32 v9, s0, v4
	v_add_nc_u32_e32 v8, v8, v10
	v_mul_hi_u32 v10, v4, v9
	v_mul_lo_u32 v11, v4, v8
	v_mul_hi_u32 v12, v4, v8
	v_mul_hi_u32 v13, v7, v9
	v_mul_lo_u32 v9, v7, v9
	v_mul_hi_u32 v14, v7, v8
	v_mul_lo_u32 v8, v7, v8
	v_add_co_u32 v10, vcc_lo, v10, v11
	v_add_co_ci_u32_e32 v11, vcc_lo, 0, v12, vcc_lo
	v_add_co_u32 v9, vcc_lo, v10, v9
	v_add_co_ci_u32_e32 v9, vcc_lo, v11, v13, vcc_lo
	v_add_co_ci_u32_e32 v10, vcc_lo, 0, v14, vcc_lo
	v_add_co_u32 v8, vcc_lo, v9, v8
	v_add_co_ci_u32_e32 v9, vcc_lo, 0, v10, vcc_lo
	v_add_co_u32 v4, vcc_lo, v4, v8
	v_add_co_ci_u32_e32 v11, vcc_lo, v7, v9, vcc_lo
	v_mul_hi_u32 v13, v5, v4
	v_mad_u64_u32 v[9:10], null, v6, v4, 0
	v_mad_u64_u32 v[7:8], null, v5, v11, 0
	;; [unrolled: 1-line block ×3, first 2 shown]
	v_add_co_u32 v4, vcc_lo, v13, v7
	v_add_co_ci_u32_e32 v7, vcc_lo, 0, v8, vcc_lo
	v_add_co_u32 v4, vcc_lo, v4, v9
	v_add_co_ci_u32_e32 v4, vcc_lo, v7, v10, vcc_lo
	v_add_co_ci_u32_e32 v7, vcc_lo, 0, v12, vcc_lo
	v_add_co_u32 v4, vcc_lo, v4, v11
	v_add_co_ci_u32_e32 v9, vcc_lo, 0, v7, vcc_lo
	v_mul_lo_u32 v10, s25, v4
	v_mad_u64_u32 v[7:8], null, s24, v4, 0
	v_mul_lo_u32 v11, s24, v9
	v_sub_co_u32 v7, vcc_lo, v5, v7
	v_add3_u32 v8, v8, v11, v10
	v_sub_nc_u32_e32 v10, v6, v8
	v_subrev_co_ci_u32_e64 v10, s0, s25, v10, vcc_lo
	v_add_co_u32 v11, s0, v4, 2
	v_add_co_ci_u32_e64 v12, s0, 0, v9, s0
	v_sub_co_u32 v13, s0, v7, s24
	v_sub_co_ci_u32_e32 v8, vcc_lo, v6, v8, vcc_lo
	v_subrev_co_ci_u32_e64 v10, s0, 0, v10, s0
	v_cmp_le_u32_e32 vcc_lo, s24, v13
	v_cmp_eq_u32_e64 s0, s25, v8
	v_cndmask_b32_e64 v13, 0, -1, vcc_lo
	v_cmp_le_u32_e32 vcc_lo, s25, v10
	v_cndmask_b32_e64 v14, 0, -1, vcc_lo
	v_cmp_le_u32_e32 vcc_lo, s24, v7
	;; [unrolled: 2-line block ×3, first 2 shown]
	v_cndmask_b32_e64 v15, 0, -1, vcc_lo
	v_cmp_eq_u32_e32 vcc_lo, s25, v10
	v_cndmask_b32_e64 v7, v15, v7, s0
	v_cndmask_b32_e32 v10, v14, v13, vcc_lo
	v_add_co_u32 v13, vcc_lo, v4, 1
	v_add_co_ci_u32_e32 v14, vcc_lo, 0, v9, vcc_lo
	v_cmp_ne_u32_e32 vcc_lo, 0, v10
	v_cndmask_b32_e32 v8, v14, v12, vcc_lo
	v_cndmask_b32_e32 v10, v13, v11, vcc_lo
	v_cmp_ne_u32_e32 vcc_lo, 0, v7
	v_cndmask_b32_e32 v51, v9, v8, vcc_lo
	v_cndmask_b32_e32 v50, v4, v10, vcc_lo
.LBB0_4:                                ;   in Loop: Header=BB0_2 Depth=1
	s_andn2_saveexec_b32 s0, s1
	s_cbranch_execz .LBB0_6
; %bb.5:                                ;   in Loop: Header=BB0_2 Depth=1
	v_cvt_f32_u32_e32 v4, s24
	s_sub_i32 s1, 0, s24
	v_mov_b32_e32 v51, v3
	v_rcp_iflag_f32_e32 v4, v4
	v_mul_f32_e32 v4, 0x4f7ffffe, v4
	v_cvt_u32_f32_e32 v4, v4
	v_mul_lo_u32 v7, s1, v4
	v_mul_hi_u32 v7, v4, v7
	v_add_nc_u32_e32 v4, v4, v7
	v_mul_hi_u32 v4, v5, v4
	v_mul_lo_u32 v7, v4, s24
	v_add_nc_u32_e32 v8, 1, v4
	v_sub_nc_u32_e32 v7, v5, v7
	v_subrev_nc_u32_e32 v9, s24, v7
	v_cmp_le_u32_e32 vcc_lo, s24, v7
	v_cndmask_b32_e32 v7, v7, v9, vcc_lo
	v_cndmask_b32_e32 v4, v4, v8, vcc_lo
	v_cmp_le_u32_e32 vcc_lo, s24, v7
	v_add_nc_u32_e32 v8, 1, v4
	v_cndmask_b32_e32 v50, v4, v8, vcc_lo
.LBB0_6:                                ;   in Loop: Header=BB0_2 Depth=1
	s_or_b32 exec_lo, exec_lo, s0
	v_mul_lo_u32 v4, v51, s24
	v_mul_lo_u32 v9, v50, s25
	s_load_dwordx2 s[0:1], s[6:7], 0x0
	v_mad_u64_u32 v[7:8], null, v50, s24, 0
	s_load_dwordx2 s[24:25], s[2:3], 0x0
	s_add_u32 s22, s22, 1
	s_addc_u32 s23, s23, 0
	s_add_u32 s2, s2, 8
	s_addc_u32 s3, s3, 0
	s_add_u32 s6, s6, 8
	v_add3_u32 v4, v8, v9, v4
	v_sub_co_u32 v5, vcc_lo, v5, v7
	s_addc_u32 s7, s7, 0
	s_add_u32 s20, s20, 8
	v_sub_co_ci_u32_e32 v4, vcc_lo, v6, v4, vcc_lo
	s_addc_u32 s21, s21, 0
	s_waitcnt lgkmcnt(0)
	v_mul_lo_u32 v6, s0, v4
	v_mul_lo_u32 v7, s1, v5
	v_mad_u64_u32 v[1:2], null, s0, v5, v[1:2]
	v_mul_lo_u32 v4, s24, v4
	v_mul_lo_u32 v8, s25, v5
	v_mad_u64_u32 v[48:49], null, s24, v5, v[48:49]
	v_cmp_ge_u64_e64 s0, s[22:23], s[14:15]
	v_add3_u32 v2, v7, v2, v6
	v_add3_u32 v49, v8, v49, v4
	s_and_b32 vcc_lo, exec_lo, s0
	s_cbranch_vccnz .LBB0_9
; %bb.7:                                ;   in Loop: Header=BB0_2 Depth=1
	v_mov_b32_e32 v5, v50
	v_mov_b32_e32 v6, v51
	s_branch .LBB0_2
.LBB0_8:
	v_mov_b32_e32 v49, v2
	v_mov_b32_e32 v51, v6
	;; [unrolled: 1-line block ×4, first 2 shown]
.LBB0_9:
	s_load_dwordx2 s[0:1], s[4:5], 0x28
	v_mul_hi_u32 v3, 0x5d1745e, v0
	s_lshl_b64 s[4:5], s[14:15], 3
                                        ; implicit-def: $vgpr52
	s_add_u32 s2, s18, s4
	s_addc_u32 s3, s19, s5
	s_waitcnt lgkmcnt(0)
	v_cmp_gt_u64_e32 vcc_lo, s[0:1], v[50:51]
	v_cmp_le_u64_e64 s0, s[0:1], v[50:51]
	s_and_saveexec_b32 s1, s0
	s_xor_b32 s0, exec_lo, s1
; %bb.10:
	v_mul_u32_u24_e32 v1, 44, v3
                                        ; implicit-def: $vgpr3
	v_sub_nc_u32_e32 v52, v0, v1
                                        ; implicit-def: $vgpr0
                                        ; implicit-def: $vgpr1_vgpr2
; %bb.11:
	s_or_saveexec_b32 s1, s0
	s_load_dwordx2 s[2:3], s[2:3], 0x0
	s_xor_b32 exec_lo, exec_lo, s1
	s_cbranch_execz .LBB0_15
; %bb.12:
	s_add_u32 s4, s16, s4
	s_addc_u32 s5, s17, s5
	v_lshlrev_b64 v[1:2], 4, v[1:2]
	s_load_dwordx2 s[4:5], s[4:5], 0x0
	s_waitcnt lgkmcnt(0)
	v_mul_lo_u32 v6, s5, v50
	v_mul_lo_u32 v7, s4, v51
	v_mad_u64_u32 v[4:5], null, s4, v50, 0
	s_mov_b32 s4, exec_lo
	v_add3_u32 v5, v5, v7, v6
	v_mul_u32_u24_e32 v6, 44, v3
	v_lshlrev_b64 v[3:4], 4, v[4:5]
	v_sub_nc_u32_e32 v52, v0, v6
	v_lshlrev_b32_e32 v30, 4, v52
	v_add_co_u32 v0, s0, s8, v3
	v_add_co_ci_u32_e64 v3, s0, s9, v4, s0
	v_add_co_u32 v0, s0, v0, v1
	v_add_co_ci_u32_e64 v1, s0, v3, v2, s0
	;; [unrolled: 2-line block ×3, first 2 shown]
	s_clause 0x1
	global_load_dwordx4 v[2:5], v[10:11], off
	global_load_dwordx4 v[6:9], v[10:11], off offset:704
	v_add_co_u32 v22, s0, 0x800, v10
	v_add_co_ci_u32_e64 v23, s0, 0, v11, s0
	v_add_co_u32 v26, s0, 0x1000, v10
	v_add_co_ci_u32_e64 v27, s0, 0, v11, s0
	s_clause 0x4
	global_load_dwordx4 v[10:13], v[10:11], off offset:1408
	global_load_dwordx4 v[14:17], v[22:23], off offset:64
	;; [unrolled: 1-line block ×5, first 2 shown]
	v_add_nc_u32_e32 v30, 0, v30
	s_waitcnt vmcnt(6)
	ds_write_b128 v30, v[2:5]
	s_waitcnt vmcnt(5)
	ds_write_b128 v30, v[6:9] offset:704
	s_waitcnt vmcnt(4)
	ds_write_b128 v30, v[10:13] offset:1408
	;; [unrolled: 2-line block ×6, first 2 shown]
	v_cmpx_eq_u32_e32 43, v52
	s_cbranch_execz .LBB0_14
; %bb.13:
	v_add_co_u32 v0, s0, 0x1000, v0
	v_add_co_ci_u32_e64 v1, s0, 0, v1, s0
	v_mov_b32_e32 v4, 0
	v_mov_b32_e32 v52, 43
	global_load_dwordx4 v[0:3], v[0:1], off offset:832
	s_waitcnt vmcnt(0)
	ds_write_b128 v4, v[0:3] offset:4928
.LBB0_14:
	s_or_b32 exec_lo, exec_lo, s4
.LBB0_15:
	s_or_b32 exec_lo, exec_lo, s1
	v_lshlrev_b32_e32 v0, 4, v52
	s_waitcnt lgkmcnt(0)
	s_barrier
	buffer_gl0_inv
	s_add_u32 s1, s12, 0x1290
	v_add_nc_u32_e32 v113, 0, v0
	v_sub_nc_u32_e32 v6, 0, v0
	s_addc_u32 s4, s13, 0
	s_mov_b32 s5, exec_lo
	ds_read_b64 v[2:3], v113
	ds_read_b64 v[4:5], v6 offset:4928
	s_waitcnt lgkmcnt(0)
	v_add_f64 v[0:1], v[2:3], v[4:5]
	v_add_f64 v[2:3], v[2:3], -v[4:5]
                                        ; implicit-def: $vgpr4_vgpr5
	v_cmpx_ne_u32_e32 0, v52
	s_xor_b32 s5, exec_lo, s5
	s_cbranch_execz .LBB0_17
; %bb.16:
	v_mov_b32_e32 v53, 0
	v_lshlrev_b64 v[4:5], 4, v[52:53]
	v_add_co_u32 v4, s0, s1, v4
	v_add_co_ci_u32_e64 v5, s0, s4, v5, s0
	global_load_dwordx4 v[7:10], v[4:5], off
	ds_read_b64 v[4:5], v6 offset:4936
	ds_read_b64 v[11:12], v113 offset:8
	s_waitcnt lgkmcnt(0)
	v_add_f64 v[13:14], v[4:5], v[11:12]
	v_add_f64 v[4:5], v[11:12], -v[4:5]
	s_waitcnt vmcnt(0)
	v_fma_f64 v[11:12], v[2:3], v[9:10], v[0:1]
	v_fma_f64 v[15:16], v[13:14], v[9:10], v[4:5]
	v_fma_f64 v[0:1], -v[2:3], v[9:10], v[0:1]
	v_fma_f64 v[4:5], v[13:14], v[9:10], -v[4:5]
	v_fma_f64 v[9:10], -v[13:14], v[7:8], v[11:12]
	v_fma_f64 v[11:12], v[2:3], v[7:8], v[15:16]
	v_fma_f64 v[0:1], v[13:14], v[7:8], v[0:1]
	;; [unrolled: 1-line block ×3, first 2 shown]
	v_mov_b32_e32 v4, v52
	v_mov_b32_e32 v5, v53
	ds_write_b128 v113, v[9:12]
	ds_write_b128 v6, v[0:3] offset:4928
                                        ; implicit-def: $vgpr0_vgpr1
.LBB0_17:
	s_andn2_saveexec_b32 s0, s5
	s_cbranch_execz .LBB0_19
; %bb.18:
	v_mov_b32_e32 v7, 0
	ds_write_b128 v113, v[0:3]
	v_mov_b32_e32 v4, 0
	v_mov_b32_e32 v5, 0
	ds_read_b128 v[0:3], v7 offset:2464
	s_waitcnt lgkmcnt(0)
	v_add_f64 v[0:1], v[0:1], v[0:1]
	v_mul_f64 v[2:3], v[2:3], -2.0
	ds_write_b128 v7, v[0:3] offset:2464
.LBB0_19:
	s_or_b32 exec_lo, exec_lo, s0
	v_lshlrev_b64 v[0:1], 4, v[4:5]
	v_add_co_u32 v0, s0, s1, v0
	v_add_co_ci_u32_e64 v1, s0, s4, v1, s0
	s_mov_b32 s1, exec_lo
	s_clause 0x1
	global_load_dwordx4 v[2:5], v[0:1], off offset:704
	global_load_dwordx4 v[7:10], v[0:1], off offset:1408
	ds_read_b128 v[11:14], v113 offset:704
	ds_read_b128 v[15:18], v6 offset:4224
	s_waitcnt lgkmcnt(0)
	v_add_f64 v[19:20], v[11:12], v[15:16]
	v_add_f64 v[21:22], v[17:18], v[13:14]
	v_add_f64 v[23:24], v[11:12], -v[15:16]
	v_add_f64 v[11:12], v[13:14], -v[17:18]
	s_waitcnt vmcnt(1)
	v_fma_f64 v[13:14], v[23:24], v[4:5], v[19:20]
	v_fma_f64 v[15:16], v[21:22], v[4:5], v[11:12]
	v_fma_f64 v[17:18], -v[23:24], v[4:5], v[19:20]
	v_fma_f64 v[4:5], v[21:22], v[4:5], -v[11:12]
	v_fma_f64 v[11:12], -v[21:22], v[2:3], v[13:14]
	v_fma_f64 v[13:14], v[23:24], v[2:3], v[15:16]
	v_fma_f64 v[15:16], v[21:22], v[2:3], v[17:18]
	;; [unrolled: 1-line block ×3, first 2 shown]
	ds_write_b128 v113, v[11:14] offset:704
	ds_write_b128 v6, v[15:18] offset:4224
	ds_read_b128 v[2:5], v113 offset:1408
	ds_read_b128 v[11:14], v6 offset:3520
	s_waitcnt lgkmcnt(0)
	v_add_f64 v[15:16], v[2:3], v[11:12]
	v_add_f64 v[17:18], v[13:14], v[4:5]
	v_add_f64 v[11:12], v[2:3], -v[11:12]
	v_add_f64 v[2:3], v[4:5], -v[13:14]
	s_waitcnt vmcnt(0)
	v_fma_f64 v[4:5], v[11:12], v[9:10], v[15:16]
	v_fma_f64 v[13:14], v[17:18], v[9:10], v[2:3]
	v_fma_f64 v[15:16], -v[11:12], v[9:10], v[15:16]
	v_fma_f64 v[19:20], v[17:18], v[9:10], -v[2:3]
	v_fma_f64 v[2:3], -v[17:18], v[7:8], v[4:5]
	v_fma_f64 v[4:5], v[11:12], v[7:8], v[13:14]
	v_fma_f64 v[9:10], v[17:18], v[7:8], v[15:16]
	v_fma_f64 v[11:12], v[11:12], v[7:8], v[19:20]
	ds_write_b128 v113, v[2:5] offset:1408
	ds_write_b128 v6, v[9:12] offset:3520
	v_cmpx_gt_u32_e32 22, v52
	s_cbranch_execz .LBB0_21
; %bb.20:
	v_add_co_u32 v0, s0, 0x800, v0
	v_add_co_ci_u32_e64 v1, s0, 0, v1, s0
	global_load_dwordx4 v[0:3], v[0:1], off offset:64
	ds_read_b128 v[7:10], v113 offset:2112
	ds_read_b128 v[11:14], v6 offset:2816
	s_waitcnt lgkmcnt(0)
	v_add_f64 v[4:5], v[7:8], v[11:12]
	v_add_f64 v[15:16], v[13:14], v[9:10]
	v_add_f64 v[11:12], v[7:8], -v[11:12]
	v_add_f64 v[7:8], v[9:10], -v[13:14]
	s_waitcnt vmcnt(0)
	v_fma_f64 v[9:10], v[11:12], v[2:3], v[4:5]
	v_fma_f64 v[13:14], v[15:16], v[2:3], v[7:8]
	v_fma_f64 v[17:18], -v[11:12], v[2:3], v[4:5]
	v_fma_f64 v[19:20], v[15:16], v[2:3], -v[7:8]
	v_fma_f64 v[2:3], -v[15:16], v[0:1], v[9:10]
	v_fma_f64 v[4:5], v[11:12], v[0:1], v[13:14]
	v_fma_f64 v[7:8], v[15:16], v[0:1], v[17:18]
	;; [unrolled: 1-line block ×3, first 2 shown]
	ds_write_b128 v113, v[2:5] offset:2112
	ds_write_b128 v6, v[7:10] offset:2816
.LBB0_21:
	s_or_b32 exec_lo, exec_lo, s1
	s_waitcnt lgkmcnt(0)
	s_barrier
	buffer_gl0_inv
	s_barrier
	buffer_gl0_inv
	ds_read_b128 v[4:7], v113 offset:4480
	ds_read_b128 v[24:27], v113 offset:448
	;; [unrolled: 1-line block ×3, first 2 shown]
	ds_read_b128 v[16:19], v113
	ds_read_b128 v[32:35], v113 offset:896
	s_mov_b32 s14, 0xbb3a28a1
	s_mov_b32 s4, 0x7f775887
	;; [unrolled: 1-line block ×4, first 2 shown]
	ds_read_b128 v[40:43], v113 offset:1344
	ds_read_b128 v[36:39], v113 offset:1792
	;; [unrolled: 1-line block ×4, first 2 shown]
	s_mov_b32 s16, 0x43842ef
	s_mov_b32 s8, 0x640f44db
	;; [unrolled: 1-line block ×8, first 2 shown]
	s_waitcnt lgkmcnt(7)
	v_add_f64 v[79:80], v[26:27], -v[6:7]
	v_add_f64 v[65:66], v[26:27], v[6:7]
	v_add_f64 v[69:70], v[24:25], v[4:5]
	s_waitcnt lgkmcnt(4)
	v_add_f64 v[61:62], v[34:35], -v[10:11]
	v_add_f64 v[83:84], v[24:25], -v[4:5]
	v_add_f64 v[57:58], v[34:35], v[10:11]
	v_add_f64 v[55:56], v[32:33], v[8:9]
	v_add_f64 v[75:76], v[32:33], -v[8:9]
	ds_read_b128 v[44:47], v113 offset:2240
	ds_read_b128 v[28:31], v113 offset:2688
	s_mov_b32 s20, 0xfd768dbf
	s_waitcnt lgkmcnt(3)
	v_add_f64 v[59:60], v[42:43], -v[14:15]
	v_add_f64 v[53:54], v[42:43], v[14:15]
	v_add_f64 v[77:78], v[40:41], v[12:13]
	s_waitcnt lgkmcnt(2)
	v_add_f64 v[85:86], v[38:39], -v[22:23]
	v_add_f64 v[91:92], v[40:41], -v[12:13]
	v_add_f64 v[63:64], v[38:39], v[22:23]
	s_mov_b32 s18, 0x9bcd5057
	s_mov_b32 s21, 0xbfd207e7
	;; [unrolled: 1-line block ×3, first 2 shown]
	v_add_f64 v[71:72], v[36:37], v[20:21]
	v_add_f64 v[87:88], v[36:37], -v[20:21]
	s_mov_b32 s24, 0xd9c712b6
	v_mul_f64 v[95:96], v[79:80], s[14:15]
	v_mul_f64 v[97:98], v[65:66], s[4:5]
	s_mov_b32 s25, 0x3fda9628
	v_mul_f64 v[93:94], v[61:62], s[16:17]
	s_mov_b32 s27, 0x3fed1bb4
	v_mul_f64 v[99:100], v[57:58], s[8:9]
	s_waitcnt lgkmcnt(0)
	v_add_f64 v[81:82], v[46:47], -v[30:31]
	v_add_f64 v[67:68], v[46:47], v[30:31]
	s_mov_b32 s26, 0x8eee2c13
	s_mov_b32 s33, exec_lo
	v_mul_f64 v[101:102], v[59:60], s[22:23]
	v_mul_f64 v[103:104], v[53:54], s[6:7]
	;; [unrolled: 1-line block ×3, first 2 shown]
	s_barrier
	v_mul_f64 v[109:110], v[63:64], s[18:19]
	buffer_gl0_inv
	v_fma_f64 v[0:1], v[69:70], s[4:5], -v[95:96]
	v_fma_f64 v[2:3], v[83:84], s[14:15], v[97:98]
	v_fma_f64 v[73:74], v[55:56], s[8:9], -v[93:94]
	v_fma_f64 v[89:90], v[75:76], s[16:17], v[99:100]
	v_mul_f64 v[107:108], v[81:82], s[26:27]
	v_mul_f64 v[111:112], v[67:68], s[24:25]
	v_fma_f64 v[114:115], v[77:78], s[6:7], -v[101:102]
	v_fma_f64 v[116:117], v[91:92], s[22:23], v[103:104]
	v_fma_f64 v[118:119], v[71:72], s[18:19], -v[105:106]
	v_fma_f64 v[120:121], v[87:88], s[20:21], v[109:110]
	v_add_f64 v[0:1], v[16:17], v[0:1]
	v_add_f64 v[2:3], v[18:19], v[2:3]
	;; [unrolled: 1-line block ×5, first 2 shown]
	v_add_f64 v[89:90], v[44:45], -v[28:29]
	v_add_f64 v[0:1], v[114:115], v[0:1]
	v_add_f64 v[2:3], v[116:117], v[2:3]
	v_fma_f64 v[114:115], v[73:74], s[24:25], -v[107:108]
	v_fma_f64 v[116:117], v[89:90], s[26:27], v[111:112]
	v_add_f64 v[0:1], v[118:119], v[0:1]
	v_add_f64 v[2:3], v[120:121], v[2:3]
	v_add_f64 v[0:1], v[114:115], v[0:1]
	v_add_f64 v[2:3], v[116:117], v[2:3]
	v_cmpx_gt_u32_e32 28, v52
	s_cbranch_execz .LBB0_23
; %bb.22:
	v_add_f64 v[26:27], v[18:19], v[26:27]
	v_add_f64 v[24:25], v[16:17], v[24:25]
	s_mov_b32 s29, 0xbfefac9e
	s_mov_b32 s28, s16
	;; [unrolled: 1-line block ×4, first 2 shown]
	v_mul_f64 v[114:115], v[69:70], s[4:5]
	v_mul_f64 v[116:117], v[75:76], s[16:17]
	;; [unrolled: 1-line block ×6, first 2 shown]
	s_mov_b32 s31, 0x3fd207e7
	s_mov_b32 s30, s20
	v_add_f64 v[26:27], v[26:27], v[34:35]
	v_add_f64 v[24:25], v[24:25], v[32:33]
	v_mul_f64 v[32:33], v[83:84], s[20:21]
	v_mul_f64 v[34:35], v[89:90], s[26:27]
	v_add_f64 v[95:96], v[114:115], v[95:96]
	v_add_f64 v[99:100], v[99:100], -v[116:117]
	v_fma_f64 v[116:117], v[69:70], s[18:19], -v[118:119]
	v_add_f64 v[97:98], v[97:98], -v[120:121]
	v_mul_f64 v[120:121], v[55:56], s[8:9]
	v_fma_f64 v[118:119], v[69:70], s[18:19], v[118:119]
	v_add_f64 v[107:108], v[124:125], v[107:108]
	v_mul_f64 v[124:125], v[75:76], s[30:31]
	v_add_f64 v[105:106], v[122:123], v[105:106]
	v_add_f64 v[26:27], v[26:27], v[42:43]
	;; [unrolled: 1-line block ×3, first 2 shown]
	v_mul_f64 v[40:41], v[87:88], s[20:21]
	v_mul_f64 v[42:43], v[91:92], s[22:23]
	v_add_f64 v[34:35], v[111:112], -v[34:35]
	v_mul_f64 v[111:112], v[83:84], s[28:29]
	v_add_f64 v[95:96], v[16:17], v[95:96]
	v_add_f64 v[97:98], v[18:19], v[97:98]
	;; [unrolled: 1-line block ×3, first 2 shown]
	v_mul_f64 v[120:121], v[79:80], s[28:29]
	v_add_f64 v[26:27], v[26:27], v[38:39]
	v_add_f64 v[24:25], v[24:25], v[36:37]
	v_mul_f64 v[36:37], v[75:76], s[0:1]
	v_fma_f64 v[38:39], v[65:66], s[18:19], v[32:33]
	v_add_f64 v[40:41], v[109:110], -v[40:41]
	v_mul_f64 v[109:110], v[77:78], s[6:7]
	v_add_f64 v[42:43], v[103:104], -v[42:43]
	v_mul_f64 v[103:104], v[61:62], s[0:1]
	v_fma_f64 v[32:33], v[65:66], s[18:19], -v[32:33]
	v_fma_f64 v[122:123], v[65:66], s[8:9], v[111:112]
	v_add_f64 v[97:98], v[99:100], v[97:98]
	v_add_f64 v[93:94], v[93:94], v[95:96]
	v_fma_f64 v[95:96], v[69:70], s[8:9], -v[120:121]
	v_fma_f64 v[111:112], v[65:66], s[8:9], -v[111:112]
	v_fma_f64 v[120:121], v[69:70], s[8:9], v[120:121]
	v_add_f64 v[26:27], v[26:27], v[46:47]
	v_add_f64 v[24:25], v[24:25], v[44:45]
	v_fma_f64 v[114:115], v[57:58], s[6:7], v[36:37]
	v_add_f64 v[38:39], v[18:19], v[38:39]
	v_add_f64 v[46:47], v[16:17], v[116:117]
	;; [unrolled: 1-line block ×3, first 2 shown]
	v_mul_f64 v[109:110], v[91:92], s[14:15]
	v_fma_f64 v[44:45], v[55:56], s[6:7], -v[103:104]
	v_fma_f64 v[36:37], v[57:58], s[6:7], -v[36:37]
	v_add_f64 v[32:33], v[18:19], v[32:33]
	v_fma_f64 v[103:104], v[55:56], s[6:7], v[103:104]
	v_add_f64 v[116:117], v[16:17], v[118:119]
	v_mul_f64 v[118:119], v[59:60], s[14:15]
	v_add_f64 v[122:123], v[18:19], v[122:123]
	v_add_f64 v[95:96], v[16:17], v[95:96]
	;; [unrolled: 1-line block ×3, first 2 shown]
	v_mul_f64 v[97:98], v[59:60], s[26:27]
	v_add_f64 v[111:112], v[18:19], v[111:112]
	v_add_f64 v[120:121], v[16:17], v[120:121]
	;; [unrolled: 1-line block ×5, first 2 shown]
	v_fma_f64 v[114:115], v[57:58], s[18:19], v[124:125]
	v_fma_f64 v[124:125], v[57:58], s[18:19], -v[124:125]
	v_add_f64 v[93:94], v[101:102], v[93:94]
	v_add_f64 v[44:45], v[44:45], v[46:47]
	v_mul_f64 v[46:47], v[87:88], s[26:27]
	v_add_f64 v[32:33], v[36:37], v[32:33]
	v_mul_f64 v[36:37], v[61:62], s[30:31]
	v_add_f64 v[103:104], v[103:104], v[116:117]
	v_fma_f64 v[116:117], v[53:54], s[4:5], v[109:110]
	v_fma_f64 v[99:100], v[77:78], s[4:5], -v[118:119]
	v_fma_f64 v[109:110], v[53:54], s[4:5], -v[109:110]
	v_fma_f64 v[118:119], v[77:78], s[4:5], v[118:119]
	v_add_f64 v[40:41], v[40:41], v[42:43]
	v_mul_f64 v[101:102], v[89:90], s[28:29]
	v_add_f64 v[22:23], v[26:27], v[22:23]
	v_add_f64 v[20:21], v[24:25], v[20:21]
	v_mul_f64 v[26:27], v[59:60], s[28:29]
	v_add_f64 v[114:115], v[114:115], v[122:123]
	v_mul_f64 v[122:123], v[85:86], s[26:27]
	v_add_f64 v[111:112], v[124:125], v[111:112]
	v_add_f64 v[93:94], v[105:106], v[93:94]
	;; [unrolled: 1-line block ×4, first 2 shown]
	v_fma_f64 v[99:100], v[55:56], s[18:19], -v[36:37]
	v_add_f64 v[32:33], v[109:110], v[32:33]
	v_fma_f64 v[109:110], v[63:64], s[24:25], v[46:47]
	v_add_f64 v[103:104], v[118:119], v[103:104]
	v_fma_f64 v[46:47], v[63:64], s[24:25], -v[46:47]
	v_mul_f64 v[116:117], v[91:92], s[26:27]
	s_mov_b32 s27, 0xbfed1bb4
	v_fma_f64 v[36:37], v[55:56], s[18:19], v[36:37]
	v_mul_f64 v[42:43], v[79:80], s[26:27]
	v_mul_f64 v[79:80], v[79:80], s[22:23]
	v_add_f64 v[14:15], v[22:23], v[14:15]
	v_add_f64 v[12:13], v[20:21], v[12:13]
	v_fma_f64 v[105:106], v[67:68], s[8:9], v[101:102]
	v_fma_f64 v[118:119], v[71:72], s[24:25], -v[122:123]
	v_fma_f64 v[122:123], v[71:72], s[24:25], v[122:123]
	v_fma_f64 v[101:102], v[67:68], s[8:9], -v[101:102]
	v_add_f64 v[95:96], v[99:100], v[95:96]
	v_mul_f64 v[99:100], v[87:88], s[22:23]
	v_add_f64 v[38:39], v[109:110], v[38:39]
	v_mul_f64 v[109:110], v[85:86], s[22:23]
	v_add_f64 v[32:33], v[46:47], v[32:33]
	v_fma_f64 v[46:47], v[77:78], s[24:25], -v[97:98]
	v_fma_f64 v[97:98], v[77:78], s[24:25], v[97:98]
	v_add_f64 v[36:37], v[36:37], v[120:121]
	v_mul_f64 v[120:121], v[75:76], s[14:15]
	v_fma_f64 v[28:29], v[69:70], s[24:25], -v[42:43]
	v_fma_f64 v[42:43], v[69:70], s[24:25], v[42:43]
	v_mul_f64 v[75:76], v[75:76], s[26:27]
	v_add_f64 v[44:45], v[118:119], v[44:45]
	v_add_f64 v[103:104], v[122:123], v[103:104]
	v_mul_f64 v[122:123], v[83:84], s[26:27]
	v_mul_f64 v[83:84], v[83:84], s[22:23]
	v_fma_f64 v[118:119], v[53:54], s[24:25], v[116:117]
	v_fma_f64 v[116:117], v[53:54], s[24:25], -v[116:117]
	v_add_f64 v[46:47], v[46:47], v[95:96]
	v_fma_f64 v[95:96], v[71:72], s[6:7], -v[109:110]
	v_add_f64 v[36:37], v[97:98], v[36:37]
	v_fma_f64 v[97:98], v[57:58], s[4:5], v[120:121]
	v_add_f64 v[28:29], v[16:17], v[28:29]
	v_fma_f64 v[120:121], v[57:58], s[4:5], -v[120:121]
	v_add_f64 v[42:43], v[16:17], v[42:43]
	v_fma_f64 v[109:110], v[71:72], s[6:7], v[109:110]
	v_fma_f64 v[124:125], v[65:66], s[24:25], v[122:123]
	v_fma_f64 v[30:31], v[65:66], s[24:25], -v[122:123]
	v_fma_f64 v[122:123], v[65:66], s[6:7], v[83:84]
	v_fma_f64 v[65:66], v[65:66], s[6:7], -v[83:84]
	v_fma_f64 v[83:84], v[69:70], s[6:7], -v[79:80]
	v_fma_f64 v[69:70], v[69:70], s[6:7], v[79:80]
	v_mul_f64 v[79:80], v[61:62], s[14:15]
	v_mul_f64 v[61:62], v[61:62], s[26:27]
	v_add_f64 v[114:115], v[118:119], v[114:115]
	v_fma_f64 v[118:119], v[63:64], s[6:7], v[99:100]
	v_fma_f64 v[99:100], v[63:64], s[6:7], -v[99:100]
	v_add_f64 v[46:47], v[95:96], v[46:47]
	v_add_f64 v[95:96], v[116:117], v[111:112]
	v_mul_f64 v[116:117], v[91:92], s[30:31]
	v_add_f64 v[36:37], v[109:110], v[36:37]
	v_add_f64 v[111:112], v[18:19], v[124:125]
	;; [unrolled: 1-line block ×7, first 2 shown]
	v_fma_f64 v[124:125], v[55:56], s[4:5], -v[79:80]
	v_fma_f64 v[65:66], v[57:58], s[24:25], -v[75:76]
	v_mul_f64 v[69:70], v[91:92], s[28:29]
	v_fma_f64 v[24:25], v[55:56], s[24:25], v[61:62]
	v_mul_f64 v[91:92], v[59:60], s[30:31]
	v_fma_f64 v[79:80], v[55:56], s[4:5], v[79:80]
	v_fma_f64 v[57:58], v[57:58], s[24:25], v[75:76]
	v_fma_f64 v[55:56], v[55:56], s[24:25], -v[61:62]
	v_mul_f64 v[61:62], v[87:88], s[16:17]
	v_mul_f64 v[87:88], v[87:88], s[14:15]
	;; [unrolled: 1-line block ×3, first 2 shown]
	v_add_f64 v[114:115], v[118:119], v[114:115]
	v_mul_f64 v[118:119], v[81:82], s[28:29]
	v_mul_f64 v[75:76], v[81:82], s[14:15]
	v_add_f64 v[97:98], v[97:98], v[111:112]
	v_add_f64 v[30:31], v[120:121], v[30:31]
	v_fma_f64 v[120:121], v[53:54], s[18:19], v[116:117]
	v_fma_f64 v[116:117], v[53:54], s[18:19], -v[116:117]
	v_add_f64 v[28:29], v[124:125], v[28:29]
	v_mul_f64 v[124:125], v[85:86], s[16:17]
	v_add_f64 v[18:19], v[65:66], v[18:19]
	v_fma_f64 v[65:66], v[53:54], s[8:9], -v[69:70]
	v_mul_f64 v[85:86], v[85:86], s[14:15]
	v_add_f64 v[16:17], v[24:25], v[16:17]
	v_fma_f64 v[24:25], v[77:78], s[8:9], v[26:27]
	v_add_f64 v[42:43], v[79:80], v[42:43]
	v_fma_f64 v[79:80], v[77:78], s[18:19], v[91:92]
	v_fma_f64 v[91:92], v[77:78], s[18:19], -v[91:92]
	v_fma_f64 v[53:54], v[53:54], s[8:9], v[69:70]
	v_add_f64 v[57:58], v[57:58], v[122:123]
	v_fma_f64 v[26:27], v[77:78], s[8:9], -v[26:27]
	v_add_f64 v[55:56], v[55:56], v[83:84]
	v_mul_f64 v[77:78], v[89:90], s[0:1]
	v_mul_f64 v[83:84], v[81:82], s[0:1]
	v_mul_f64 v[89:90], v[89:90], s[20:21]
	v_mul_f64 v[81:82], v[81:82], s[20:21]
	v_fma_f64 v[69:70], v[67:68], s[4:5], v[59:60]
	v_add_f64 v[30:31], v[116:117], v[30:31]
	v_fma_f64 v[116:117], v[63:64], s[8:9], -v[61:62]
	v_fma_f64 v[122:123], v[73:74], s[4:5], -v[75:76]
	;; [unrolled: 1-line block ×3, first 2 shown]
	v_fma_f64 v[20:21], v[71:72], s[8:9], v[124:125]
	v_fma_f64 v[118:119], v[73:74], s[8:9], v[118:119]
	v_add_f64 v[18:19], v[65:66], v[18:19]
	v_fma_f64 v[65:66], v[63:64], s[4:5], -v[87:88]
	v_fma_f64 v[22:23], v[71:72], s[4:5], v[85:86]
	v_add_f64 v[16:17], v[24:25], v[16:17]
	v_add_f64 v[24:25], v[79:80], v[42:43]
	v_fma_f64 v[42:43], v[63:64], s[8:9], v[61:62]
	v_add_f64 v[61:62], v[120:121], v[97:98]
	v_fma_f64 v[79:80], v[71:72], s[8:9], -v[124:125]
	v_add_f64 v[28:29], v[91:92], v[28:29]
	v_fma_f64 v[63:64], v[63:64], s[4:5], v[87:88]
	v_add_f64 v[53:54], v[53:54], v[57:58]
	v_fma_f64 v[57:58], v[71:72], s[4:5], -v[85:86]
	v_add_f64 v[26:27], v[26:27], v[55:56]
	v_fma_f64 v[55:56], v[67:68], s[4:5], -v[59:60]
	v_add_f64 v[59:60], v[99:100], v[95:96]
	v_add_f64 v[95:96], v[14:15], v[10:11]
	;; [unrolled: 1-line block ×3, first 2 shown]
	v_fma_f64 v[71:72], v[73:74], s[4:5], v[75:76]
	v_fma_f64 v[75:76], v[67:68], s[6:7], -v[77:78]
	v_add_f64 v[30:31], v[116:117], v[30:31]
	v_fma_f64 v[87:88], v[67:68], s[18:19], -v[89:90]
	v_fma_f64 v[91:92], v[73:74], s[18:19], v[81:82]
	v_add_f64 v[65:66], v[65:66], v[18:19]
	v_fma_f64 v[85:86], v[73:74], s[6:7], v[83:84]
	v_add_f64 v[16:17], v[22:23], v[16:17]
	;; [unrolled: 2-line block ×4, first 2 shown]
	v_fma_f64 v[61:62], v[73:74], s[6:7], -v[83:84]
	v_add_f64 v[79:80], v[79:80], v[28:29]
	v_add_f64 v[18:19], v[34:35], v[40:41]
	;; [unrolled: 1-line block ×3, first 2 shown]
	v_fma_f64 v[63:64], v[73:74], s[18:19], -v[81:82]
	v_add_f64 v[57:58], v[57:58], v[26:27]
	v_add_f64 v[14:15], v[101:102], v[32:33]
	v_add_f64 v[22:23], v[55:56], v[59:60]
	v_add_f64 v[6:7], v[95:96], v[6:7]
	v_add_f64 v[4:5], v[97:98], v[4:5]
	v_add_f64 v[12:13], v[118:119], v[103:104]
	v_add_f64 v[10:11], v[105:106], v[38:39]
	v_add_f64 v[26:27], v[75:76], v[30:31]
	v_add_f64 v[8:9], v[111:112], v[44:45]
	v_add_f64 v[34:35], v[69:70], v[114:115]
	v_add_f64 v[30:31], v[87:88], v[65:66]
	v_add_f64 v[32:33], v[122:123], v[46:47]
	v_add_f64 v[28:29], v[91:92], v[16:17]
	v_add_f64 v[16:17], v[107:108], v[93:94]
	v_add_f64 v[24:25], v[85:86], v[20:21]
	v_add_f64 v[20:21], v[71:72], v[36:37]
	v_add_f64 v[38:39], v[77:78], v[42:43]
	v_mad_u32_u24 v44, 0xa0, v52, v113
	v_add_f64 v[36:37], v[61:62], v[79:80]
	v_add_f64 v[42:43], v[67:68], v[53:54]
	;; [unrolled: 1-line block ×3, first 2 shown]
	ds_write_b128 v44, v[4:7]
	ds_write_b128 v44, v[28:31] offset:16
	ds_write_b128 v44, v[24:27] offset:32
	;; [unrolled: 1-line block ×10, first 2 shown]
.LBB0_23:
	s_or_b32 exec_lo, exec_lo, s33
	v_and_b32_e32 v4, 0xff, v52
	s_waitcnt lgkmcnt(0)
	s_barrier
	buffer_gl0_inv
	s_mov_b32 s0, 0x37e14327
	v_mul_lo_u16 v4, 0x75, v4
	s_mov_b32 s1, 0x3fe948f6
	s_mov_b32 s4, 0x36b3c0b5
	s_mov_b32 s6, 0xe976ee23
	s_mov_b32 s5, 0x3fac98ee
	v_lshrrev_b16 v4, 8, v4
	s_mov_b32 s7, 0x3fe11646
	s_mov_b32 s9, 0x3fe77f67
	;; [unrolled: 1-line block ×4, first 2 shown]
	v_sub_nc_u16 v5, v52, v4
	s_mov_b32 s14, 0xb247c609
	v_lshrrev_b16 v5, 1, v5
	v_and_b32_e32 v5, 0x7f, v5
	v_add_nc_u16 v4, v5, v4
	v_mov_b32_e32 v5, 6
	v_lshrrev_b16 v69, 3, v4
	v_mul_lo_u16 v4, v69, 11
	v_sub_nc_u16 v70, v52, v4
	v_mul_u32_u24_sdwa v4, v70, v5 dst_sel:DWORD dst_unused:UNUSED_PAD src0_sel:BYTE_0 src1_sel:DWORD
	v_lshlrev_b32_e32 v24, 4, v4
	s_clause 0x5
	global_load_dwordx4 v[4:7], v24, s[12:13]
	global_load_dwordx4 v[8:11], v24, s[12:13] offset:16
	global_load_dwordx4 v[12:15], v24, s[12:13] offset:80
	;; [unrolled: 1-line block ×5, first 2 shown]
	ds_read_b128 v[28:31], v113 offset:704
	ds_read_b128 v[32:35], v113 offset:1408
	;; [unrolled: 1-line block ×6, first 2 shown]
	s_waitcnt vmcnt(5) lgkmcnt(5)
	v_mul_f64 v[57:58], v[30:31], v[6:7]
	v_mul_f64 v[6:7], v[28:29], v[6:7]
	s_waitcnt vmcnt(4) lgkmcnt(4)
	v_mul_f64 v[59:60], v[34:35], v[10:11]
	v_mul_f64 v[10:11], v[32:33], v[10:11]
	;; [unrolled: 3-line block ×6, first 2 shown]
	v_fma_f64 v[28:29], v[28:29], v[4:5], v[57:58]
	v_fma_f64 v[4:5], v[30:31], v[4:5], -v[6:7]
	v_fma_f64 v[6:7], v[32:33], v[8:9], v[59:60]
	v_fma_f64 v[8:9], v[34:35], v[8:9], -v[10:11]
	;; [unrolled: 2-line block ×6, first 2 shown]
	v_add_f64 v[26:27], v[28:29], v[10:11]
	v_add_f64 v[30:31], v[4:5], v[12:13]
	;; [unrolled: 1-line block ×4, first 2 shown]
	v_add_f64 v[14:15], v[6:7], -v[14:15]
	v_add_f64 v[8:9], v[8:9], -v[16:17]
	v_add_f64 v[36:37], v[18:19], v[22:23]
	v_add_f64 v[38:39], v[20:21], v[24:25]
	v_add_f64 v[16:17], v[22:23], -v[18:19]
	v_add_f64 v[18:19], v[24:25], -v[20:21]
	;; [unrolled: 1-line block ×4, first 2 shown]
	ds_read_b128 v[4:7], v113
	s_waitcnt lgkmcnt(0)
	s_barrier
	buffer_gl0_inv
	v_add_f64 v[20:21], v[32:33], v[26:27]
	v_add_f64 v[22:23], v[34:35], v[30:31]
	v_add_f64 v[24:25], v[26:27], -v[36:37]
	v_add_f64 v[28:29], v[30:31], -v[38:39]
	;; [unrolled: 1-line block ×10, first 2 shown]
	v_add_f64 v[14:15], v[16:17], v[14:15]
	v_add_f64 v[8:9], v[18:19], v[8:9]
	v_add_f64 v[32:33], v[10:11], -v[16:17]
	v_add_f64 v[20:21], v[36:37], v[20:21]
	v_add_f64 v[22:23], v[38:39], v[22:23]
	v_add_f64 v[38:39], v[12:13], -v[18:19]
	v_mul_f64 v[24:25], v[24:25], s[0:1]
	v_mul_f64 v[28:29], v[28:29], s[0:1]
	s_mov_b32 s0, 0x429ad128
	v_mul_f64 v[34:35], v[40:41], s[4:5]
	v_mul_f64 v[36:37], v[42:43], s[4:5]
	;; [unrolled: 1-line block ×4, first 2 shown]
	s_mov_b32 s1, 0xbfebfeb5
	s_mov_b32 s6, 0xaaaaaaaa
	v_mul_f64 v[57:58], v[53:54], s[0:1]
	v_mul_f64 v[59:60], v[55:56], s[0:1]
	s_mov_b32 s7, 0xbff2aaaa
	v_add_f64 v[16:17], v[4:5], v[20:21]
	v_add_f64 v[18:19], v[6:7], v[22:23]
	;; [unrolled: 1-line block ×4, first 2 shown]
	v_fma_f64 v[8:9], v[40:41], s[4:5], v[24:25]
	v_fma_f64 v[10:11], v[42:43], s[4:5], v[28:29]
	v_fma_f64 v[12:13], v[26:27], s[8:9], -v[34:35]
	v_fma_f64 v[14:15], v[30:31], s[8:9], -v[36:37]
	s_mov_b32 s9, 0xbfe77f67
	v_fma_f64 v[34:35], v[32:33], s[14:15], v[44:45]
	v_fma_f64 v[36:37], v[38:39], s[14:15], v[46:47]
	s_mov_b32 s15, 0x3fd5d0dc
	v_fma_f64 v[24:25], v[26:27], s[8:9], -v[24:25]
	v_fma_f64 v[32:33], v[32:33], s[14:15], -v[57:58]
	;; [unrolled: 1-line block ×6, first 2 shown]
	s_mov_b32 s0, 0x37c3f68c
	s_mov_b32 s1, 0xbfdc38aa
	v_mov_b32_e32 v53, 0x4d0
	v_fma_f64 v[20:21], v[20:21], s[6:7], v[16:17]
	v_fma_f64 v[22:23], v[22:23], s[6:7], v[18:19]
	;; [unrolled: 1-line block ×8, first 2 shown]
	v_cmp_gt_u32_e64 s0, 33, v52
	v_add_f64 v[44:45], v[8:9], v[20:21]
	v_add_f64 v[46:47], v[10:11], v[22:23]
	;; [unrolled: 1-line block ×7, first 2 shown]
	v_add_f64 v[22:23], v[46:47], -v[34:35]
	v_add_f64 v[24:25], v[38:39], v[8:9]
	v_add_f64 v[26:27], v[10:11], -v[32:33]
	v_add_f64 v[28:29], v[4:5], -v[42:43]
	v_add_f64 v[30:31], v[40:41], v[6:7]
	v_add_f64 v[4:5], v[42:43], v[4:5]
	v_add_f64 v[6:7], v[6:7], -v[40:41]
	v_add_f64 v[8:9], v[8:9], -v[38:39]
	v_add_f64 v[10:11], v[32:33], v[10:11]
	v_add_f64 v[12:13], v[44:45], -v[36:37]
	v_add_f64 v[14:15], v[34:35], v[46:47]
	v_mov_b32_e32 v32, 4
	v_mul_u32_u24_sdwa v33, v69, v53 dst_sel:DWORD dst_unused:UNUSED_PAD src0_sel:WORD_0 src1_sel:DWORD
	v_lshlrev_b32_sdwa v32, v32, v70 dst_sel:DWORD dst_unused:UNUSED_PAD src0_sel:DWORD src1_sel:BYTE_0
	v_add3_u32 v32, 0, v33, v32
	ds_write_b128 v32, v[16:19]
	ds_write_b128 v32, v[20:23] offset:176
	ds_write_b128 v32, v[24:27] offset:352
	;; [unrolled: 1-line block ×6, first 2 shown]
	s_waitcnt lgkmcnt(0)
	s_barrier
	buffer_gl0_inv
	ds_read_b128 v[16:19], v113
	ds_read_b128 v[28:31], v113 offset:1232
	ds_read_b128 v[24:27], v113 offset:2464
	;; [unrolled: 1-line block ×3, first 2 shown]
	s_and_saveexec_b32 s1, s0
	s_cbranch_execz .LBB0_25
; %bb.24:
	ds_read_b128 v[4:7], v113 offset:704
	ds_read_b128 v[8:11], v113 offset:1936
	ds_read_b128 v[12:15], v113 offset:3168
	ds_read_b128 v[0:3], v113 offset:4400
.LBB0_25:
	s_or_b32 exec_lo, exec_lo, s1
	v_mul_u32_u24_e32 v32, 3, v52
	v_lshlrev_b32_e32 v40, 4, v32
	s_clause 0x2
	global_load_dwordx4 v[32:35], v40, s[12:13] offset:1056
	global_load_dwordx4 v[36:39], v40, s[12:13] offset:1072
	global_load_dwordx4 v[40:43], v40, s[12:13] offset:1088
	s_waitcnt vmcnt(0) lgkmcnt(0)
	s_barrier
	buffer_gl0_inv
	v_mul_f64 v[44:45], v[30:31], v[34:35]
	v_mul_f64 v[34:35], v[28:29], v[34:35]
	;; [unrolled: 1-line block ×6, first 2 shown]
	v_fma_f64 v[28:29], v[28:29], v[32:33], v[44:45]
	v_fma_f64 v[30:31], v[30:31], v[32:33], -v[34:35]
	v_fma_f64 v[24:25], v[24:25], v[36:37], v[46:47]
	v_fma_f64 v[26:27], v[26:27], v[36:37], -v[38:39]
	;; [unrolled: 2-line block ×3, first 2 shown]
	v_add_f64 v[24:25], v[16:17], -v[24:25]
	v_add_f64 v[26:27], v[18:19], -v[26:27]
	;; [unrolled: 1-line block ×4, first 2 shown]
	v_fma_f64 v[32:33], v[16:17], 2.0, -v[24:25]
	v_fma_f64 v[34:35], v[18:19], 2.0, -v[26:27]
	;; [unrolled: 1-line block ×4, first 2 shown]
	v_add_f64 v[16:17], v[24:25], v[22:23]
	v_add_f64 v[18:19], v[26:27], -v[20:21]
	v_add_f64 v[20:21], v[32:33], -v[28:29]
	;; [unrolled: 1-line block ×3, first 2 shown]
	v_fma_f64 v[24:25], v[24:25], 2.0, -v[16:17]
	v_fma_f64 v[26:27], v[26:27], 2.0, -v[18:19]
	;; [unrolled: 1-line block ×4, first 2 shown]
	ds_write_b128 v113, v[24:27] offset:1232
	ds_write_b128 v113, v[20:23] offset:2464
	ds_write_b128 v113, v[28:31]
	ds_write_b128 v113, v[16:19] offset:3696
	s_and_saveexec_b32 s1, s0
	s_cbranch_execz .LBB0_27
; %bb.26:
	v_add_nc_u32_e32 v16, 44, v52
	v_subrev_nc_u32_e32 v17, 33, v52
	v_cndmask_b32_e64 v16, v17, v16, s0
	v_mov_b32_e32 v17, 0
	v_mul_i32_i24_e32 v16, 3, v16
	v_lshlrev_b64 v[16:17], 4, v[16:17]
	v_add_co_u32 v24, s0, s12, v16
	v_add_co_ci_u32_e64 v25, s0, s13, v17, s0
	s_clause 0x2
	global_load_dwordx4 v[16:19], v[24:25], off offset:1072
	global_load_dwordx4 v[20:23], v[24:25], off offset:1056
	;; [unrolled: 1-line block ×3, first 2 shown]
	s_waitcnt vmcnt(2)
	v_mul_f64 v[28:29], v[12:13], v[18:19]
	s_waitcnt vmcnt(1)
	v_mul_f64 v[30:31], v[10:11], v[22:23]
	v_mul_f64 v[22:23], v[8:9], v[22:23]
	s_waitcnt vmcnt(0)
	v_mul_f64 v[32:33], v[0:1], v[26:27]
	v_mul_f64 v[18:19], v[14:15], v[18:19]
	;; [unrolled: 1-line block ×3, first 2 shown]
	v_fma_f64 v[14:15], v[14:15], v[16:17], -v[28:29]
	v_fma_f64 v[8:9], v[8:9], v[20:21], v[30:31]
	v_fma_f64 v[10:11], v[10:11], v[20:21], -v[22:23]
	v_fma_f64 v[2:3], v[2:3], v[24:25], -v[32:33]
	v_fma_f64 v[12:13], v[12:13], v[16:17], v[18:19]
	v_fma_f64 v[0:1], v[0:1], v[24:25], v[26:27]
	v_add_f64 v[14:15], v[6:7], -v[14:15]
	v_add_f64 v[16:17], v[10:11], -v[2:3]
	;; [unrolled: 1-line block ×4, first 2 shown]
	v_fma_f64 v[18:19], v[6:7], 2.0, -v[14:15]
	v_fma_f64 v[6:7], v[10:11], 2.0, -v[16:17]
	;; [unrolled: 1-line block ×4, first 2 shown]
	v_add_f64 v[2:3], v[14:15], -v[0:1]
	v_add_f64 v[0:1], v[12:13], v[16:17]
	v_add_f64 v[6:7], v[18:19], -v[6:7]
	v_add_f64 v[4:5], v[20:21], -v[4:5]
	v_fma_f64 v[10:11], v[14:15], 2.0, -v[2:3]
	v_fma_f64 v[8:9], v[12:13], 2.0, -v[0:1]
	;; [unrolled: 1-line block ×4, first 2 shown]
	ds_write_b128 v113, v[8:11] offset:1936
	ds_write_b128 v113, v[4:7] offset:3168
	;; [unrolled: 1-line block ×4, first 2 shown]
.LBB0_27:
	s_or_b32 exec_lo, exec_lo, s1
	s_waitcnt lgkmcnt(0)
	s_barrier
	buffer_gl0_inv
	s_and_saveexec_b32 s0, vcc_lo
	s_cbranch_execz .LBB0_29
; %bb.28:
	v_mul_lo_u32 v2, s3, v50
	v_mul_lo_u32 v3, s2, v51
	v_mad_u64_u32 v[0:1], null, s2, v50, 0
	v_lshl_add_u32 v17, v52, 4, 0
	v_mov_b32_e32 v53, 0
	v_lshlrev_b64 v[8:9], 4, v[48:49]
	v_add_nc_u32_e32 v10, 44, v52
	v_add_nc_u32_e32 v12, 0x58, v52
	;; [unrolled: 1-line block ×3, first 2 shown]
	v_add3_u32 v1, v1, v3, v2
	v_mov_b32_e32 v11, v53
	v_lshlrev_b64 v[15:16], 4, v[52:53]
	v_mov_b32_e32 v25, v53
	v_lshlrev_b64 v[13:14], 4, v[0:1]
	ds_read_b128 v[0:3], v17
	ds_read_b128 v[4:7], v17 offset:704
	v_lshlrev_b64 v[24:25], 4, v[24:25]
	v_add_co_u32 v18, vcc_lo, s10, v13
	v_add_co_ci_u32_e32 v14, vcc_lo, s11, v14, vcc_lo
	v_mov_b32_e32 v13, v53
	v_add_co_u32 v30, vcc_lo, v18, v8
	v_add_co_ci_u32_e32 v31, vcc_lo, v14, v9, vcc_lo
	v_lshlrev_b64 v[8:9], 4, v[10:11]
	v_add_co_u32 v10, vcc_lo, v30, v15
	v_add_co_ci_u32_e32 v11, vcc_lo, v31, v16, vcc_lo
	v_lshlrev_b64 v[12:13], 4, v[12:13]
	v_add_co_u32 v8, vcc_lo, v30, v8
	v_add_co_ci_u32_e32 v9, vcc_lo, v31, v9, vcc_lo
	s_waitcnt lgkmcnt(1)
	global_store_dwordx4 v[10:11], v[0:3], off
	s_waitcnt lgkmcnt(0)
	global_store_dwordx4 v[8:9], v[4:7], off
	v_add_nc_u32_e32 v0, 0x84, v52
	v_mov_b32_e32 v1, v53
	v_add_co_u32 v20, vcc_lo, v30, v12
	v_add_nc_u32_e32 v10, 0xb0, v52
	v_mov_b32_e32 v11, v53
	v_lshlrev_b64 v[8:9], 4, v[0:1]
	v_add_co_ci_u32_e32 v21, vcc_lo, v31, v13, vcc_lo
	ds_read_b128 v[0:3], v17 offset:1408
	ds_read_b128 v[4:7], v17 offset:2112
	v_lshlrev_b64 v[26:27], 4, v[10:11]
	v_add_nc_u32_e32 v52, 0x108, v52
	v_add_co_u32 v22, vcc_lo, v30, v8
	v_add_co_ci_u32_e32 v23, vcc_lo, v31, v9, vcc_lo
	ds_read_b128 v[8:11], v17 offset:2816
	ds_read_b128 v[12:15], v17 offset:3520
	ds_read_b128 v[16:19], v17 offset:4224
	v_add_co_u32 v26, vcc_lo, v30, v26
	v_lshlrev_b64 v[28:29], 4, v[52:53]
	v_add_co_ci_u32_e32 v27, vcc_lo, v31, v27, vcc_lo
	v_add_co_u32 v24, vcc_lo, v30, v24
	v_add_co_ci_u32_e32 v25, vcc_lo, v31, v25, vcc_lo
	v_add_co_u32 v28, vcc_lo, v30, v28
	v_add_co_ci_u32_e32 v29, vcc_lo, v31, v29, vcc_lo
	s_waitcnt lgkmcnt(4)
	global_store_dwordx4 v[20:21], v[0:3], off
	s_waitcnt lgkmcnt(3)
	global_store_dwordx4 v[22:23], v[4:7], off
	;; [unrolled: 2-line block ×5, first 2 shown]
.LBB0_29:
	s_endpgm
	.section	.rodata,"a",@progbits
	.p2align	6, 0x0
	.amdhsa_kernel fft_rtc_back_len308_factors_11_7_4_wgs_44_tpt_44_dp_op_CI_CI_unitstride_sbrr_C2R_dirReg
		.amdhsa_group_segment_fixed_size 0
		.amdhsa_private_segment_fixed_size 0
		.amdhsa_kernarg_size 104
		.amdhsa_user_sgpr_count 6
		.amdhsa_user_sgpr_private_segment_buffer 1
		.amdhsa_user_sgpr_dispatch_ptr 0
		.amdhsa_user_sgpr_queue_ptr 0
		.amdhsa_user_sgpr_kernarg_segment_ptr 1
		.amdhsa_user_sgpr_dispatch_id 0
		.amdhsa_user_sgpr_flat_scratch_init 0
		.amdhsa_user_sgpr_private_segment_size 0
		.amdhsa_wavefront_size32 1
		.amdhsa_uses_dynamic_stack 0
		.amdhsa_system_sgpr_private_segment_wavefront_offset 0
		.amdhsa_system_sgpr_workgroup_id_x 1
		.amdhsa_system_sgpr_workgroup_id_y 0
		.amdhsa_system_sgpr_workgroup_id_z 0
		.amdhsa_system_sgpr_workgroup_info 0
		.amdhsa_system_vgpr_workitem_id 0
		.amdhsa_next_free_vgpr 126
		.amdhsa_next_free_sgpr 34
		.amdhsa_reserve_vcc 1
		.amdhsa_reserve_flat_scratch 0
		.amdhsa_float_round_mode_32 0
		.amdhsa_float_round_mode_16_64 0
		.amdhsa_float_denorm_mode_32 3
		.amdhsa_float_denorm_mode_16_64 3
		.amdhsa_dx10_clamp 1
		.amdhsa_ieee_mode 1
		.amdhsa_fp16_overflow 0
		.amdhsa_workgroup_processor_mode 1
		.amdhsa_memory_ordered 1
		.amdhsa_forward_progress 0
		.amdhsa_shared_vgpr_count 0
		.amdhsa_exception_fp_ieee_invalid_op 0
		.amdhsa_exception_fp_denorm_src 0
		.amdhsa_exception_fp_ieee_div_zero 0
		.amdhsa_exception_fp_ieee_overflow 0
		.amdhsa_exception_fp_ieee_underflow 0
		.amdhsa_exception_fp_ieee_inexact 0
		.amdhsa_exception_int_div_zero 0
	.end_amdhsa_kernel
	.text
.Lfunc_end0:
	.size	fft_rtc_back_len308_factors_11_7_4_wgs_44_tpt_44_dp_op_CI_CI_unitstride_sbrr_C2R_dirReg, .Lfunc_end0-fft_rtc_back_len308_factors_11_7_4_wgs_44_tpt_44_dp_op_CI_CI_unitstride_sbrr_C2R_dirReg
                                        ; -- End function
	.section	.AMDGPU.csdata,"",@progbits
; Kernel info:
; codeLenInByte = 7824
; NumSgprs: 36
; NumVgprs: 126
; ScratchSize: 0
; MemoryBound: 0
; FloatMode: 240
; IeeeMode: 1
; LDSByteSize: 0 bytes/workgroup (compile time only)
; SGPRBlocks: 4
; VGPRBlocks: 15
; NumSGPRsForWavesPerEU: 36
; NumVGPRsForWavesPerEU: 126
; Occupancy: 8
; WaveLimiterHint : 1
; COMPUTE_PGM_RSRC2:SCRATCH_EN: 0
; COMPUTE_PGM_RSRC2:USER_SGPR: 6
; COMPUTE_PGM_RSRC2:TRAP_HANDLER: 0
; COMPUTE_PGM_RSRC2:TGID_X_EN: 1
; COMPUTE_PGM_RSRC2:TGID_Y_EN: 0
; COMPUTE_PGM_RSRC2:TGID_Z_EN: 0
; COMPUTE_PGM_RSRC2:TIDIG_COMP_CNT: 0
	.text
	.p2alignl 6, 3214868480
	.fill 48, 4, 3214868480
	.type	__hip_cuid_73755ded8344d335,@object ; @__hip_cuid_73755ded8344d335
	.section	.bss,"aw",@nobits
	.globl	__hip_cuid_73755ded8344d335
__hip_cuid_73755ded8344d335:
	.byte	0                               ; 0x0
	.size	__hip_cuid_73755ded8344d335, 1

	.ident	"AMD clang version 19.0.0git (https://github.com/RadeonOpenCompute/llvm-project roc-6.4.0 25133 c7fe45cf4b819c5991fe208aaa96edf142730f1d)"
	.section	".note.GNU-stack","",@progbits
	.addrsig
	.addrsig_sym __hip_cuid_73755ded8344d335
	.amdgpu_metadata
---
amdhsa.kernels:
  - .args:
      - .actual_access:  read_only
        .address_space:  global
        .offset:         0
        .size:           8
        .value_kind:     global_buffer
      - .offset:         8
        .size:           8
        .value_kind:     by_value
      - .actual_access:  read_only
        .address_space:  global
        .offset:         16
        .size:           8
        .value_kind:     global_buffer
      - .actual_access:  read_only
        .address_space:  global
        .offset:         24
        .size:           8
        .value_kind:     global_buffer
      - .actual_access:  read_only
        .address_space:  global
        .offset:         32
        .size:           8
        .value_kind:     global_buffer
      - .offset:         40
        .size:           8
        .value_kind:     by_value
      - .actual_access:  read_only
        .address_space:  global
        .offset:         48
        .size:           8
        .value_kind:     global_buffer
      - .actual_access:  read_only
        .address_space:  global
        .offset:         56
        .size:           8
        .value_kind:     global_buffer
      - .offset:         64
        .size:           4
        .value_kind:     by_value
      - .actual_access:  read_only
        .address_space:  global
        .offset:         72
        .size:           8
        .value_kind:     global_buffer
      - .actual_access:  read_only
        .address_space:  global
        .offset:         80
        .size:           8
        .value_kind:     global_buffer
      - .actual_access:  read_only
        .address_space:  global
        .offset:         88
        .size:           8
        .value_kind:     global_buffer
      - .actual_access:  write_only
        .address_space:  global
        .offset:         96
        .size:           8
        .value_kind:     global_buffer
    .group_segment_fixed_size: 0
    .kernarg_segment_align: 8
    .kernarg_segment_size: 104
    .language:       OpenCL C
    .language_version:
      - 2
      - 0
    .max_flat_workgroup_size: 44
    .name:           fft_rtc_back_len308_factors_11_7_4_wgs_44_tpt_44_dp_op_CI_CI_unitstride_sbrr_C2R_dirReg
    .private_segment_fixed_size: 0
    .sgpr_count:     36
    .sgpr_spill_count: 0
    .symbol:         fft_rtc_back_len308_factors_11_7_4_wgs_44_tpt_44_dp_op_CI_CI_unitstride_sbrr_C2R_dirReg.kd
    .uniform_work_group_size: 1
    .uses_dynamic_stack: false
    .vgpr_count:     126
    .vgpr_spill_count: 0
    .wavefront_size: 32
    .workgroup_processor_mode: 1
amdhsa.target:   amdgcn-amd-amdhsa--gfx1030
amdhsa.version:
  - 1
  - 2
...

	.end_amdgpu_metadata
